;; amdgpu-corpus repo=ROCm/rocFFT kind=compiled arch=gfx1030 opt=O3
	.text
	.amdgcn_target "amdgcn-amd-amdhsa--gfx1030"
	.amdhsa_code_object_version 6
	.protected	fft_rtc_fwd_len120_factors_6_10_2_wgs_60_tpt_12_halfLds_sp_op_CI_CI_unitstride_sbrr_C2R_dirReg ; -- Begin function fft_rtc_fwd_len120_factors_6_10_2_wgs_60_tpt_12_halfLds_sp_op_CI_CI_unitstride_sbrr_C2R_dirReg
	.globl	fft_rtc_fwd_len120_factors_6_10_2_wgs_60_tpt_12_halfLds_sp_op_CI_CI_unitstride_sbrr_C2R_dirReg
	.p2align	8
	.type	fft_rtc_fwd_len120_factors_6_10_2_wgs_60_tpt_12_halfLds_sp_op_CI_CI_unitstride_sbrr_C2R_dirReg,@function
fft_rtc_fwd_len120_factors_6_10_2_wgs_60_tpt_12_halfLds_sp_op_CI_CI_unitstride_sbrr_C2R_dirReg: ; @fft_rtc_fwd_len120_factors_6_10_2_wgs_60_tpt_12_halfLds_sp_op_CI_CI_unitstride_sbrr_C2R_dirReg
; %bb.0:
	s_load_dwordx4 s[12:15], s[4:5], 0x0
	v_mul_u32_u24_e32 v1, 0x1556, v0
	s_clause 0x1
	s_load_dwordx4 s[8:11], s[4:5], 0x58
	s_load_dwordx4 s[16:19], s[4:5], 0x18
	v_mov_b32_e32 v5, 0
	v_lshrrev_b32_e32 v3, 16, v1
	v_mov_b32_e32 v1, 0
	v_mov_b32_e32 v2, 0
	v_mad_u64_u32 v[3:4], null, s6, 5, v[3:4]
	v_mov_b32_e32 v4, v5
	v_mov_b32_e32 v21, v2
	;; [unrolled: 1-line block ×5, first 2 shown]
	s_waitcnt lgkmcnt(0)
	v_cmp_lt_u64_e64 s0, s[14:15], 2
	s_and_b32 vcc_lo, exec_lo, s0
	s_cbranch_vccnz .LBB0_8
; %bb.1:
	s_load_dwordx2 s[0:1], s[4:5], 0x10
	v_mov_b32_e32 v1, 0
	v_mov_b32_e32 v2, 0
	s_add_u32 s2, s18, 8
	v_mov_b32_e32 v8, v4
	s_addc_u32 s3, s19, 0
	v_mov_b32_e32 v7, v3
	v_mov_b32_e32 v21, v2
	s_add_u32 s6, s16, 8
	v_mov_b32_e32 v20, v1
	s_addc_u32 s7, s17, 0
	s_mov_b64 s[22:23], 1
	s_waitcnt lgkmcnt(0)
	s_add_u32 s20, s0, 8
	s_addc_u32 s21, s1, 0
.LBB0_2:                                ; =>This Inner Loop Header: Depth=1
	s_load_dwordx2 s[24:25], s[20:21], 0x0
                                        ; implicit-def: $vgpr22_vgpr23
	s_mov_b32 s0, exec_lo
	s_waitcnt lgkmcnt(0)
	v_or_b32_e32 v6, s25, v8
	v_cmpx_ne_u64_e32 0, v[5:6]
	s_xor_b32 s1, exec_lo, s0
	s_cbranch_execz .LBB0_4
; %bb.3:                                ;   in Loop: Header=BB0_2 Depth=1
	v_cvt_f32_u32_e32 v4, s24
	v_cvt_f32_u32_e32 v6, s25
	s_sub_u32 s0, 0, s24
	s_subb_u32 s26, 0, s25
	v_fmac_f32_e32 v4, 0x4f800000, v6
	v_rcp_f32_e32 v4, v4
	v_mul_f32_e32 v4, 0x5f7ffffc, v4
	v_mul_f32_e32 v6, 0x2f800000, v4
	v_trunc_f32_e32 v6, v6
	v_fmac_f32_e32 v4, 0xcf800000, v6
	v_cvt_u32_f32_e32 v6, v6
	v_cvt_u32_f32_e32 v4, v4
	v_mul_lo_u32 v9, s0, v6
	v_mul_hi_u32 v10, s0, v4
	v_mul_lo_u32 v11, s26, v4
	v_add_nc_u32_e32 v9, v10, v9
	v_mul_lo_u32 v10, s0, v4
	v_add_nc_u32_e32 v9, v9, v11
	v_mul_hi_u32 v11, v4, v10
	v_mul_lo_u32 v12, v4, v9
	v_mul_hi_u32 v13, v4, v9
	v_mul_hi_u32 v14, v6, v10
	v_mul_lo_u32 v10, v6, v10
	v_mul_hi_u32 v15, v6, v9
	v_mul_lo_u32 v9, v6, v9
	v_add_co_u32 v11, vcc_lo, v11, v12
	v_add_co_ci_u32_e32 v12, vcc_lo, 0, v13, vcc_lo
	v_add_co_u32 v10, vcc_lo, v11, v10
	v_add_co_ci_u32_e32 v10, vcc_lo, v12, v14, vcc_lo
	v_add_co_ci_u32_e32 v11, vcc_lo, 0, v15, vcc_lo
	v_add_co_u32 v9, vcc_lo, v10, v9
	v_add_co_ci_u32_e32 v10, vcc_lo, 0, v11, vcc_lo
	v_add_co_u32 v4, vcc_lo, v4, v9
	v_add_co_ci_u32_e32 v6, vcc_lo, v6, v10, vcc_lo
	v_mul_hi_u32 v9, s0, v4
	v_mul_lo_u32 v11, s26, v4
	v_mul_lo_u32 v10, s0, v6
	v_add_nc_u32_e32 v9, v9, v10
	v_mul_lo_u32 v10, s0, v4
	v_add_nc_u32_e32 v9, v9, v11
	v_mul_hi_u32 v11, v4, v10
	v_mul_lo_u32 v12, v4, v9
	v_mul_hi_u32 v13, v4, v9
	v_mul_hi_u32 v14, v6, v10
	v_mul_lo_u32 v10, v6, v10
	v_mul_hi_u32 v15, v6, v9
	v_mul_lo_u32 v9, v6, v9
	v_add_co_u32 v11, vcc_lo, v11, v12
	v_add_co_ci_u32_e32 v12, vcc_lo, 0, v13, vcc_lo
	v_add_co_u32 v10, vcc_lo, v11, v10
	v_add_co_ci_u32_e32 v10, vcc_lo, v12, v14, vcc_lo
	v_add_co_ci_u32_e32 v11, vcc_lo, 0, v15, vcc_lo
	v_add_co_u32 v9, vcc_lo, v10, v9
	v_add_co_ci_u32_e32 v10, vcc_lo, 0, v11, vcc_lo
	v_add_co_u32 v4, vcc_lo, v4, v9
	v_add_co_ci_u32_e32 v6, vcc_lo, v6, v10, vcc_lo
	v_mul_hi_u32 v15, v7, v4
	v_mad_u64_u32 v[11:12], null, v8, v4, 0
	v_mad_u64_u32 v[9:10], null, v7, v6, 0
	;; [unrolled: 1-line block ×3, first 2 shown]
	v_add_co_u32 v4, vcc_lo, v15, v9
	v_add_co_ci_u32_e32 v6, vcc_lo, 0, v10, vcc_lo
	v_add_co_u32 v4, vcc_lo, v4, v11
	v_add_co_ci_u32_e32 v4, vcc_lo, v6, v12, vcc_lo
	v_add_co_ci_u32_e32 v6, vcc_lo, 0, v14, vcc_lo
	v_add_co_u32 v4, vcc_lo, v4, v13
	v_add_co_ci_u32_e32 v6, vcc_lo, 0, v6, vcc_lo
	v_mul_lo_u32 v11, s25, v4
	v_mad_u64_u32 v[9:10], null, s24, v4, 0
	v_mul_lo_u32 v12, s24, v6
	v_sub_co_u32 v9, vcc_lo, v7, v9
	v_add3_u32 v10, v10, v12, v11
	v_sub_nc_u32_e32 v11, v8, v10
	v_subrev_co_ci_u32_e64 v11, s0, s25, v11, vcc_lo
	v_add_co_u32 v12, s0, v4, 2
	v_add_co_ci_u32_e64 v13, s0, 0, v6, s0
	v_sub_co_u32 v14, s0, v9, s24
	v_sub_co_ci_u32_e32 v10, vcc_lo, v8, v10, vcc_lo
	v_subrev_co_ci_u32_e64 v11, s0, 0, v11, s0
	v_cmp_le_u32_e32 vcc_lo, s24, v14
	v_cmp_eq_u32_e64 s0, s25, v10
	v_cndmask_b32_e64 v14, 0, -1, vcc_lo
	v_cmp_le_u32_e32 vcc_lo, s25, v11
	v_cndmask_b32_e64 v15, 0, -1, vcc_lo
	v_cmp_le_u32_e32 vcc_lo, s24, v9
	;; [unrolled: 2-line block ×3, first 2 shown]
	v_cndmask_b32_e64 v16, 0, -1, vcc_lo
	v_cmp_eq_u32_e32 vcc_lo, s25, v11
	v_cndmask_b32_e64 v9, v16, v9, s0
	v_cndmask_b32_e32 v11, v15, v14, vcc_lo
	v_add_co_u32 v14, vcc_lo, v4, 1
	v_add_co_ci_u32_e32 v15, vcc_lo, 0, v6, vcc_lo
	v_cmp_ne_u32_e32 vcc_lo, 0, v11
	v_cndmask_b32_e32 v10, v15, v13, vcc_lo
	v_cndmask_b32_e32 v11, v14, v12, vcc_lo
	v_cmp_ne_u32_e32 vcc_lo, 0, v9
	v_cndmask_b32_e32 v23, v6, v10, vcc_lo
	v_cndmask_b32_e32 v22, v4, v11, vcc_lo
.LBB0_4:                                ;   in Loop: Header=BB0_2 Depth=1
	s_andn2_saveexec_b32 s0, s1
	s_cbranch_execz .LBB0_6
; %bb.5:                                ;   in Loop: Header=BB0_2 Depth=1
	v_cvt_f32_u32_e32 v4, s24
	s_sub_i32 s1, 0, s24
	v_mov_b32_e32 v23, v5
	v_rcp_iflag_f32_e32 v4, v4
	v_mul_f32_e32 v4, 0x4f7ffffe, v4
	v_cvt_u32_f32_e32 v4, v4
	v_mul_lo_u32 v6, s1, v4
	v_mul_hi_u32 v6, v4, v6
	v_add_nc_u32_e32 v4, v4, v6
	v_mul_hi_u32 v4, v7, v4
	v_mul_lo_u32 v6, v4, s24
	v_add_nc_u32_e32 v9, 1, v4
	v_sub_nc_u32_e32 v6, v7, v6
	v_subrev_nc_u32_e32 v10, s24, v6
	v_cmp_le_u32_e32 vcc_lo, s24, v6
	v_cndmask_b32_e32 v6, v6, v10, vcc_lo
	v_cndmask_b32_e32 v4, v4, v9, vcc_lo
	v_cmp_le_u32_e32 vcc_lo, s24, v6
	v_add_nc_u32_e32 v9, 1, v4
	v_cndmask_b32_e32 v22, v4, v9, vcc_lo
.LBB0_6:                                ;   in Loop: Header=BB0_2 Depth=1
	s_or_b32 exec_lo, exec_lo, s0
	v_mul_lo_u32 v4, v23, s24
	v_mul_lo_u32 v6, v22, s25
	s_load_dwordx2 s[0:1], s[6:7], 0x0
	v_mad_u64_u32 v[9:10], null, v22, s24, 0
	s_load_dwordx2 s[24:25], s[2:3], 0x0
	s_add_u32 s22, s22, 1
	s_addc_u32 s23, s23, 0
	s_add_u32 s2, s2, 8
	s_addc_u32 s3, s3, 0
	s_add_u32 s6, s6, 8
	v_add3_u32 v4, v10, v6, v4
	v_sub_co_u32 v6, vcc_lo, v7, v9
	s_addc_u32 s7, s7, 0
	s_add_u32 s20, s20, 8
	v_sub_co_ci_u32_e32 v4, vcc_lo, v8, v4, vcc_lo
	s_addc_u32 s21, s21, 0
	s_waitcnt lgkmcnt(0)
	v_mul_lo_u32 v7, s0, v4
	v_mul_lo_u32 v8, s1, v6
	v_mad_u64_u32 v[1:2], null, s0, v6, v[1:2]
	v_mul_lo_u32 v4, s24, v4
	v_mul_lo_u32 v9, s25, v6
	v_mad_u64_u32 v[20:21], null, s24, v6, v[20:21]
	v_cmp_ge_u64_e64 s0, s[22:23], s[14:15]
	v_add3_u32 v2, v8, v2, v7
	v_add3_u32 v21, v9, v21, v4
	s_and_b32 vcc_lo, exec_lo, s0
	s_cbranch_vccnz .LBB0_8
; %bb.7:                                ;   in Loop: Header=BB0_2 Depth=1
	v_mov_b32_e32 v7, v22
	v_mov_b32_e32 v8, v23
	s_branch .LBB0_2
.LBB0_8:
	s_load_dwordx2 s[0:1], s[4:5], 0x28
	v_mul_hi_u32 v4, 0xcccccccd, v3
	v_mul_hi_u32 v5, 0x15555556, v0
	s_lshl_b64 s[4:5], s[14:15], 3
                                        ; implicit-def: $vgpr24
	s_add_u32 s2, s18, s4
	s_addc_u32 s3, s19, s5
	v_lshrrev_b32_e32 v4, 2, v4
	v_lshl_add_u32 v4, v4, 2, v4
	v_sub_nc_u32_e32 v6, v3, v4
	s_waitcnt lgkmcnt(0)
	v_cmp_gt_u64_e32 vcc_lo, s[0:1], v[22:23]
	v_cmp_le_u64_e64 s0, s[0:1], v[22:23]
                                        ; implicit-def: $vgpr3_vgpr4
	s_and_saveexec_b32 s1, s0
	s_xor_b32 s0, exec_lo, s1
; %bb.9:
	v_mul_u32_u24_e32 v1, 12, v5
	v_mov_b32_e32 v25, 0
                                        ; implicit-def: $vgpr5
	v_sub_nc_u32_e32 v24, v0, v1
                                        ; implicit-def: $vgpr0
                                        ; implicit-def: $vgpr1_vgpr2
	v_mov_b32_e32 v3, v24
	v_mov_b32_e32 v4, v25
; %bb.10:
	s_or_saveexec_b32 s1, s0
	s_load_dwordx2 s[2:3], s[2:3], 0x0
	v_mul_u32_u24_e32 v36, 0x79, v6
	v_lshlrev_b32_e32 v34, 3, v36
	s_xor_b32 exec_lo, exec_lo, s1
	s_cbranch_execz .LBB0_14
; %bb.11:
	s_add_u32 s4, s16, s4
	s_addc_u32 s5, s17, s5
	v_mul_u32_u24_e32 v5, 12, v5
	s_load_dwordx2 s[4:5], s[4:5], 0x0
	v_lshlrev_b64 v[1:2], 3, v[1:2]
	v_mov_b32_e32 v25, 0
	v_sub_nc_u32_e32 v24, v0, v5
	s_waitcnt lgkmcnt(0)
	v_mul_lo_u32 v6, s5, v22
	v_mul_lo_u32 v7, s4, v23
	v_mad_u64_u32 v[3:4], null, s4, v22, 0
	s_mov_b32 s4, exec_lo
	v_add3_u32 v4, v4, v7, v6
	v_lshlrev_b64 v[3:4], 3, v[3:4]
	v_add_co_u32 v0, s0, s8, v3
	v_add_co_ci_u32_e64 v3, s0, s9, v4, s0
	v_lshlrev_b32_e32 v4, 3, v24
	v_add_co_u32 v0, s0, v0, v1
	v_add_co_ci_u32_e64 v1, s0, v3, v2, s0
	v_add_co_u32 v2, s0, v0, v4
	v_add_co_ci_u32_e64 v3, s0, 0, v1, s0
	s_clause 0x9
	global_load_dwordx2 v[5:6], v[2:3], off
	global_load_dwordx2 v[7:8], v[2:3], off offset:96
	global_load_dwordx2 v[9:10], v[2:3], off offset:192
	;; [unrolled: 1-line block ×9, first 2 shown]
	v_add3_u32 v2, 0, v34, v4
	v_mov_b32_e32 v3, v24
	v_mov_b32_e32 v4, v25
	s_waitcnt vmcnt(8)
	ds_write2_b64 v2, v[5:6], v[7:8] offset1:12
	s_waitcnt vmcnt(6)
	ds_write2_b64 v2, v[9:10], v[11:12] offset0:24 offset1:36
	s_waitcnt vmcnt(4)
	ds_write2_b64 v2, v[13:14], v[15:16] offset0:48 offset1:60
	;; [unrolled: 2-line block ×4, first 2 shown]
	v_cmpx_eq_u32_e32 11, v24
	s_cbranch_execz .LBB0_13
; %bb.12:
	global_load_dwordx2 v[0:1], v[0:1], off offset:960
	v_mov_b32_e32 v3, 11
	v_mov_b32_e32 v4, 0
	v_mov_b32_e32 v24, 11
	s_waitcnt vmcnt(0)
	ds_write_b64 v2, v[0:1] offset:872
.LBB0_13:
	s_or_b32 exec_lo, exec_lo, s4
.LBB0_14:
	s_or_b32 exec_lo, exec_lo, s1
	v_lshl_add_u32 v32, v36, 3, 0
	v_lshlrev_b32_e32 v0, 3, v24
	s_waitcnt lgkmcnt(0)
	s_barrier
	buffer_gl0_inv
	v_lshlrev_b64 v[26:27], 3, v[3:4]
	v_add_nc_u32_e32 v33, v32, v0
	v_sub_nc_u32_e32 v2, v32, v0
	s_mov_b32 s1, exec_lo
	ds_read_b32 v5, v33
	ds_read_b32 v6, v2 offset:960
	s_waitcnt lgkmcnt(0)
	v_add_f32_e32 v0, v6, v5
	v_sub_f32_e32 v1, v5, v6
	v_cmpx_ne_u32_e32 0, v24
	s_xor_b32 s1, exec_lo, s1
	s_cbranch_execz .LBB0_16
; %bb.15:
	v_add_co_u32 v0, s0, s12, v26
	v_add_co_ci_u32_e64 v1, s0, s13, v27, s0
	v_add_f32_e32 v7, v6, v5
	v_sub_f32_e32 v8, v5, v6
	global_load_dwordx2 v[3:4], v[0:1], off offset:912
	ds_read_b32 v0, v2 offset:964
	ds_read_b32 v1, v33 offset:4
	s_waitcnt lgkmcnt(0)
	v_add_f32_e32 v9, v0, v1
	v_sub_f32_e32 v0, v1, v0
	s_waitcnt vmcnt(0)
	v_fma_f32 v5, -v8, v4, v7
	v_fma_f32 v6, v9, v4, -v0
	v_fma_f32 v10, v8, v4, v7
	v_fma_f32 v1, v9, v4, v0
	v_fmac_f32_e32 v5, v3, v9
	v_fmac_f32_e32 v6, v8, v3
	v_fma_f32 v0, -v3, v9, v10
	v_fmac_f32_e32 v1, v8, v3
	ds_write_b64 v2, v[5:6] offset:960
.LBB0_16:
	s_andn2_saveexec_b32 s0, s1
	s_cbranch_execz .LBB0_18
; %bb.17:
	ds_read_b64 v[3:4], v32 offset:480
	s_waitcnt lgkmcnt(0)
	v_add_f32_e32 v3, v3, v3
	v_mul_f32_e32 v4, -2.0, v4
	ds_write_b64 v32, v[3:4] offset:480
.LBB0_18:
	s_or_b32 exec_lo, exec_lo, s0
	v_mov_b32_e32 v25, 0
	s_add_u32 s0, s12, 0x390
	s_addc_u32 s1, s13, 0
	v_lshl_add_u32 v30, v24, 3, 0
	v_lshlrev_b64 v[28:29], 3, v[24:25]
	v_add_nc_u32_e32 v35, v30, v34
	v_mad_u32_u24 v37, v24, 40, v30
	v_add_co_u32 v3, s0, s0, v28
	v_add_co_ci_u32_e64 v4, s0, s1, v29, s0
	v_cmp_gt_u32_e64 s0, 8, v24
	v_add_nc_u32_e32 v40, v37, v34
	s_clause 0x3
	global_load_dwordx2 v[5:6], v[3:4], off offset:96
	global_load_dwordx2 v[7:8], v[3:4], off offset:192
	;; [unrolled: 1-line block ×4, first 2 shown]
	ds_write_b64 v33, v[0:1]
	ds_read_b64 v[0:1], v33 offset:96
	ds_read_b64 v[11:12], v2 offset:864
	s_waitcnt lgkmcnt(0)
	v_add_f32_e32 v13, v0, v11
	v_add_f32_e32 v14, v12, v1
	v_sub_f32_e32 v15, v0, v11
	v_sub_f32_e32 v0, v1, v12
	s_waitcnt vmcnt(3)
	v_fma_f32 v16, v15, v6, v13
	v_fma_f32 v1, v14, v6, v0
	v_fma_f32 v11, -v15, v6, v13
	v_fma_f32 v12, v14, v6, -v0
	v_fma_f32 v0, -v5, v14, v16
	v_fmac_f32_e32 v1, v15, v5
	v_fmac_f32_e32 v11, v5, v14
	v_fmac_f32_e32 v12, v15, v5
	ds_write_b64 v33, v[0:1] offset:96
	ds_write_b64 v2, v[11:12] offset:864
	ds_read_b64 v[0:1], v33 offset:192
	ds_read_b64 v[5:6], v2 offset:768
	s_waitcnt lgkmcnt(0)
	v_add_f32_e32 v11, v0, v5
	v_add_f32_e32 v12, v6, v1
	v_sub_f32_e32 v13, v0, v5
	v_sub_f32_e32 v0, v1, v6
	s_waitcnt vmcnt(2)
	v_fma_f32 v14, v13, v8, v11
	v_fma_f32 v1, v12, v8, v0
	v_fma_f32 v5, -v13, v8, v11
	v_fma_f32 v6, v12, v8, -v0
	v_fma_f32 v0, -v7, v12, v14
	v_fmac_f32_e32 v1, v13, v7
	v_fmac_f32_e32 v5, v7, v12
	v_fmac_f32_e32 v6, v13, v7
	ds_write_b64 v33, v[0:1] offset:192
	ds_write_b64 v2, v[5:6] offset:768
	;; [unrolled: 18-line block ×4, first 2 shown]
	s_waitcnt lgkmcnt(0)
	s_barrier
	buffer_gl0_inv
	s_barrier
	buffer_gl0_inv
	ds_read2_b64 v[0:3], v35 offset0:32 offset1:40
	ds_read_b64 v[38:39], v33
	ds_read2_b64 v[4:7], v35 offset0:72 offset1:80
	ds_read2_b64 v[12:15], v35 offset0:12 offset1:20
	;; [unrolled: 1-line block ×4, first 2 shown]
	ds_read_b64 v[30:31], v35 offset:896
	s_waitcnt lgkmcnt(0)
	s_barrier
	buffer_gl0_inv
	v_add_f32_e32 v41, v38, v2
	v_add_f32_e32 v42, v2, v6
	v_sub_f32_e32 v43, v3, v7
	v_add_f32_e32 v48, v15, v19
	v_add_f32_e32 v46, v18, v10
	v_sub_f32_e32 v47, v19, v11
	;; [unrolled: 3-line block ×3, first 2 shown]
	v_fma_f32 v38, -0.5, v42, v38
	v_fma_f32 v14, -0.5, v46, v14
	;; [unrolled: 1-line block ×3, first 2 shown]
	v_add_f32_e32 v44, v39, v3
	v_add_f32_e32 v3, v3, v7
	v_fmamk_f32 v19, v43, 0x3f5db3d7, v38
	v_fmac_f32_e32 v38, 0xbf5db3d7, v43
	v_fmamk_f32 v42, v47, 0x3f5db3d7, v14
	v_fmamk_f32 v43, v18, 0xbf5db3d7, v15
	v_fmac_f32_e32 v14, 0xbf5db3d7, v47
	v_fmac_f32_e32 v15, 0x3f5db3d7, v18
	v_sub_f32_e32 v2, v2, v6
	v_fmac_f32_e32 v39, -0.5, v3
	v_add_f32_e32 v10, v45, v10
	v_mul_f32_e32 v18, 0x3f5db3d7, v43
	v_mul_f32_e32 v45, 0xbf5db3d7, v42
	v_add_f32_e32 v7, v44, v7
	v_mul_f32_e32 v44, -0.5, v14
	v_mul_f32_e32 v46, -0.5, v15
	v_add_f32_e32 v6, v41, v6
	v_add_f32_e32 v11, v48, v11
	v_fmamk_f32 v41, v2, 0xbf5db3d7, v39
	v_fmac_f32_e32 v18, 0.5, v42
	v_fmac_f32_e32 v45, 0.5, v43
	v_fmac_f32_e32 v39, 0x3f5db3d7, v2
	v_fmac_f32_e32 v44, 0x3f5db3d7, v15
	v_fmac_f32_e32 v46, 0xbf5db3d7, v14
	v_add_f32_e32 v2, v6, v10
	v_add_f32_e32 v3, v7, v11
	v_sub_f32_e32 v6, v6, v10
	v_sub_f32_e32 v7, v7, v11
	v_add_f32_e32 v10, v19, v18
	v_add_f32_e32 v11, v41, v45
	;; [unrolled: 1-line block ×4, first 2 shown]
	v_sub_f32_e32 v18, v19, v18
	v_sub_f32_e32 v38, v38, v44
	;; [unrolled: 1-line block ×4, first 2 shown]
	ds_write2_b64 v40, v[2:3], v[10:11] offset1:1
	ds_write2_b64 v40, v[14:15], v[6:7] offset0:2 offset1:3
	ds_write2_b64 v40, v[18:19], v[38:39] offset0:4 offset1:5
	s_and_saveexec_b32 s1, s0
	s_cbranch_execz .LBB0_20
; %bb.19:
	v_add_f32_e32 v3, v5, v31
	v_add_f32_e32 v2, v4, v30
	v_sub_f32_e32 v7, v4, v30
	v_sub_f32_e32 v6, v5, v31
	v_add_f32_e32 v11, v17, v9
	v_fma_f32 v10, -0.5, v3, v1
	v_fma_f32 v2, -0.5, v2, v0
	v_add_f32_e32 v18, v16, v8
	v_add_f32_e32 v5, v1, v5
	v_sub_f32_e32 v3, v16, v8
	v_fmamk_f32 v15, v7, 0x3f5db3d7, v10
	v_fmamk_f32 v14, v6, 0xbf5db3d7, v2
	v_fmac_f32_e32 v10, 0xbf5db3d7, v7
	v_fmac_f32_e32 v2, 0x3f5db3d7, v6
	v_add_f32_e32 v6, v13, v17
	v_mul_f32_e32 v7, -0.5, v15
	v_fma_f32 v11, -0.5, v11, v13
	v_fma_f32 v18, -0.5, v18, v12
	v_mul_f32_e32 v13, 0xbf5db3d7, v2
	v_add_f32_e32 v6, v6, v9
	v_fmac_f32_e32 v7, 0xbf5db3d7, v14
	v_mul_f32_e32 v14, -0.5, v14
	v_sub_f32_e32 v9, v17, v9
	v_add_f32_e32 v17, v5, v31
	v_add_f32_e32 v5, v12, v16
	;; [unrolled: 1-line block ×3, first 2 shown]
	v_fmac_f32_e32 v14, 0x3f5db3d7, v15
	v_mul_f32_e32 v15, 0x3f5db3d7, v10
	v_fmamk_f32 v19, v3, 0x3f5db3d7, v11
	v_fmac_f32_e32 v11, 0xbf5db3d7, v3
	v_fmac_f32_e32 v13, 0.5, v10
	v_fmamk_f32 v12, v9, 0xbf5db3d7, v18
	v_add_f32_e32 v10, v5, v8
	v_add_f32_e32 v16, v0, v30
	v_fmac_f32_e32 v18, 0x3f5db3d7, v9
	v_fmac_f32_e32 v15, 0.5, v2
	v_sub_f32_e32 v3, v11, v13
	v_add_f32_e32 v9, v11, v13
	v_sub_f32_e32 v4, v10, v16
	v_add_f32_e32 v11, v6, v17
	v_add_f32_e32 v8, v18, v15
	;; [unrolled: 1-line block ×3, first 2 shown]
	v_lshl_add_u32 v13, v36, 3, v37
	v_sub_f32_e32 v1, v19, v7
	v_sub_f32_e32 v5, v6, v17
	v_add_f32_e32 v7, v19, v7
	v_add_f32_e32 v6, v12, v14
	v_sub_f32_e32 v0, v12, v14
	v_sub_f32_e32 v2, v18, v15
	ds_write2_b64 v13, v[10:11], v[8:9] offset0:72 offset1:73
	ds_write2_b64 v13, v[6:7], v[4:5] offset0:74 offset1:75
	;; [unrolled: 1-line block ×3, first 2 shown]
.LBB0_20:
	s_or_b32 exec_lo, exec_lo, s1
	v_add_nc_u32_e32 v0, -6, v24
	v_cmp_gt_u32_e64 s0, 6, v24
	v_mov_b32_e32 v1, v25
	s_waitcnt lgkmcnt(0)
	s_barrier
	buffer_gl0_inv
	v_cndmask_b32_e64 v19, v0, v24, s0
	v_mul_i32_i24_e32 v0, 9, v19
	v_lshlrev_b32_e32 v19, 3, v19
	v_lshlrev_b64 v[0:1], 3, v[0:1]
	v_add_co_u32 v17, s0, s12, v0
	v_add_co_ci_u32_e64 v18, s0, s13, v1, s0
	v_mul_i32_i24_e32 v0, 0xffffffd8, v24
	v_cmp_lt_u32_e64 s0, 5, v24
	s_clause 0x4
	global_load_dwordx4 v[1:4], v[17:18], off
	global_load_dwordx4 v[5:8], v[17:18], off offset:16
	global_load_dwordx4 v[9:12], v[17:18], off offset:32
	;; [unrolled: 1-line block ×3, first 2 shown]
	global_load_dwordx2 v[17:18], v[17:18], off offset:64
	v_add3_u32 v0, v37, v0, v34
	ds_read2_b64 v[36:39], v35 offset0:60 offset1:72
	ds_read2_b64 v[40:43], v0 offset0:12 offset1:24
	v_cndmask_b32_e64 v25, 0, 0x1e0, s0
	v_add_co_u32 v30, s0, s12, v26
	ds_read2_b64 v[44:47], v0 offset0:36 offset1:48
	v_add_co_ci_u32_e64 v31, s0, s13, v27, s0
	v_add_nc_u32_e32 v54, 0, v25
	v_add_co_u32 v48, s0, s12, v28
	ds_read2_b64 v[25:28], v0 offset0:84 offset1:96
	ds_read_b64 v[50:51], v33
	ds_read_b64 v[52:53], v0 offset:864
	v_add_co_ci_u32_e64 v49, s0, s13, v29, s0
	v_add3_u32 v19, v54, v19, v34
	s_waitcnt vmcnt(0) lgkmcnt(0)
	s_barrier
	buffer_gl0_inv
	v_mul_f32_e32 v29, v2, v41
	v_mul_f32_e32 v34, v2, v40
	v_mul_f32_e32 v2, v4, v43
	v_mul_f32_e32 v4, v4, v42
	v_mul_f32_e32 v54, v6, v45
	v_mul_f32_e32 v6, v6, v44
	v_mul_f32_e32 v55, v8, v47
	v_mul_f32_e32 v8, v8, v46
	v_mul_f32_e32 v56, v10, v37
	v_mul_f32_e32 v10, v10, v36
	v_mul_f32_e32 v57, v39, v12
	v_mul_f32_e32 v12, v38, v12
	v_fma_f32 v29, v1, v40, -v29
	v_fmac_f32_e32 v34, v1, v41
	v_fma_f32 v1, v3, v42, -v2
	v_fmac_f32_e32 v4, v3, v43
	v_mul_f32_e32 v2, v26, v14
	v_mul_f32_e32 v3, v25, v14
	;; [unrolled: 1-line block ×6, first 2 shown]
	v_fma_f32 v41, v5, v44, -v54
	v_fmac_f32_e32 v6, v5, v45
	v_fma_f32 v5, v7, v46, -v55
	v_fmac_f32_e32 v8, v7, v47
	;; [unrolled: 2-line block ×7, first 2 shown]
	v_add_f32_e32 v14, v50, v1
	v_add_f32_e32 v15, v5, v9
	v_sub_f32_e32 v36, v5, v1
	v_sub_f32_e32 v37, v9, v11
	v_add_f32_e32 v38, v51, v4
	v_add_f32_e32 v39, v8, v12
	v_sub_f32_e32 v42, v4, v8
	v_sub_f32_e32 v43, v16, v12
	v_add_f32_e32 v44, v4, v16
	v_add_f32_e32 v46, v29, v41
	;; [unrolled: 1-line block ×5, first 2 shown]
	v_sub_f32_e32 v26, v1, v5
	v_sub_f32_e32 v40, v5, v9
	v_add_f32_e32 v56, v41, v13
	v_add_f32_e32 v5, v14, v5
	;; [unrolled: 1-line block ×3, first 2 shown]
	v_sub_f32_e32 v17, v4, v16
	v_sub_f32_e32 v25, v8, v12
	;; [unrolled: 1-line block ×12, first 2 shown]
	v_add_f32_e32 v36, v36, v37
	v_add_f32_e32 v8, v38, v8
	;; [unrolled: 1-line block ×3, first 2 shown]
	v_fma_f32 v38, -0.5, v39, v51
	v_fmac_f32_e32 v51, -0.5, v44
	v_add_f32_e32 v7, v46, v7
	v_fma_f32 v42, -0.5, v15, v50
	v_fma_f32 v15, -0.5, v47, v29
	v_add_f32_e32 v10, v59, v10
	v_fma_f32 v44, -0.5, v60, v34
	v_fmac_f32_e32 v29, -0.5, v56
	v_fmac_f32_e32 v34, -0.5, v14
	v_sub_f32_e32 v45, v12, v16
	v_sub_f32_e32 v55, v13, v2
	;; [unrolled: 1-line block ×4, first 2 shown]
	v_add_f32_e32 v26, v26, v27
	v_sub_f32_e32 v27, v3, v18
	v_add_f32_e32 v2, v7, v2
	v_fmamk_f32 v7, v52, 0x3f737871, v15
	v_add_f32_e32 v3, v10, v3
	v_fmamk_f32 v10, v41, 0xbf737871, v44
	v_add_f32_e32 v28, v1, v11
	v_add_f32_e32 v5, v5, v9
	;; [unrolled: 1-line block ×3, first 2 shown]
	v_fmamk_f32 v9, v53, 0xbf737871, v29
	v_fmac_f32_e32 v29, 0x3f737871, v53
	v_fmamk_f32 v12, v61, 0x3f737871, v34
	v_fmac_f32_e32 v34, 0xbf737871, v61
	v_fmac_f32_e32 v15, 0xbf737871, v52
	v_fmac_f32_e32 v44, 0x3f737871, v41
	v_sub_f32_e32 v1, v1, v11
	v_add_f32_e32 v4, v4, v45
	v_add_f32_e32 v39, v54, v55
	;; [unrolled: 1-line block ×3, first 2 shown]
	v_fmamk_f32 v47, v40, 0x3f737871, v51
	v_fmac_f32_e32 v51, 0xbf737871, v40
	v_fmac_f32_e32 v7, 0x3f167918, v53
	;; [unrolled: 1-line block ×3, first 2 shown]
	v_fma_f32 v28, -0.5, v28, v50
	v_add_f32_e32 v43, v57, v58
	v_add_f32_e32 v6, v6, v27
	v_fmamk_f32 v14, v17, 0x3f737871, v42
	v_fmac_f32_e32 v42, 0xbf737871, v17
	v_fmac_f32_e32 v9, 0x3f167918, v52
	;; [unrolled: 1-line block ×7, first 2 shown]
	v_fmamk_f32 v46, v1, 0xbf737871, v38
	v_add_f32_e32 v5, v5, v11
	v_add_f32_e32 v8, v8, v16
	v_fmac_f32_e32 v47, 0xbf167918, v1
	v_fmac_f32_e32 v51, 0x3f167918, v1
	v_add_f32_e32 v11, v2, v13
	v_add_f32_e32 v13, v3, v18
	v_fmac_f32_e32 v7, 0x3e9e377a, v39
	v_fmac_f32_e32 v10, 0x3e9e377a, v45
	v_fmamk_f32 v27, v25, 0xbf737871, v28
	v_fmac_f32_e32 v28, 0x3f737871, v25
	v_fmac_f32_e32 v14, 0x3f167918, v25
	;; [unrolled: 1-line block ×13, first 2 shown]
	v_add_f32_e32 v2, v8, v13
	v_sub_f32_e32 v4, v8, v13
	v_mul_f32_e32 v13, 0x3f167918, v10
	v_mul_f32_e32 v18, 0xbf167918, v7
	v_fmac_f32_e32 v27, 0x3f167918, v17
	v_fmac_f32_e32 v28, 0xbf167918, v17
	;; [unrolled: 1-line block ×4, first 2 shown]
	v_add_f32_e32 v1, v5, v11
	v_sub_f32_e32 v3, v5, v11
	v_mul_f32_e32 v16, 0x3f737871, v12
	v_mul_f32_e32 v5, 0x3e9e377a, v29
	;; [unrolled: 1-line block ×4, first 2 shown]
	v_fmac_f32_e32 v38, 0x3f167918, v40
	v_mul_f32_e32 v6, 0x3f4f1bbd, v15
	v_mul_f32_e32 v11, 0x3f4f1bbd, v44
	v_fmac_f32_e32 v46, 0x3e9e377a, v37
	v_fmac_f32_e32 v13, 0x3f4f1bbd, v7
	;; [unrolled: 1-line block ×6, first 2 shown]
	v_fma_f32 v17, 0x3f737871, v34, -v5
	v_fmac_f32_e32 v26, 0x3e9e377a, v12
	v_fma_f32 v29, 0xbf737871, v29, -v8
	v_fmac_f32_e32 v38, 0x3e9e377a, v37
	v_fma_f32 v25, 0x3f167918, v44, -v6
	v_fma_f32 v34, 0xbf167918, v15, -v11
	v_add_f32_e32 v5, v14, v13
	v_add_f32_e32 v6, v46, v18
	;; [unrolled: 1-line block ×8, first 2 shown]
	v_sub_f32_e32 v13, v14, v13
	v_sub_f32_e32 v15, v27, v16
	;; [unrolled: 1-line block ×8, first 2 shown]
	ds_write2_b64 v19, v[1:2], v[5:6] offset1:6
	ds_write2_b64 v19, v[7:8], v[9:10] offset0:12 offset1:18
	ds_write2_b64 v19, v[11:12], v[3:4] offset0:24 offset1:30
	ds_write2_b64 v19, v[13:14], v[15:16] offset0:36 offset1:42
	ds_write2_b64 v19, v[17:18], v[25:26] offset0:48 offset1:54
	s_waitcnt lgkmcnt(0)
	s_barrier
	buffer_gl0_inv
	s_clause 0x4
	global_load_dwordx2 v[17:18], v[30:31], off offset:432
	global_load_dwordx2 v[25:26], v[48:49], off offset:528
	;; [unrolled: 1-line block ×5, first 2 shown]
	ds_read2_b64 v[1:4], v35 offset0:60 offset1:72
	ds_read2_b64 v[5:8], v0 offset0:84 offset1:96
	ds_read_b64 v[38:39], v0 offset:864
	ds_read_b64 v[33:34], v33
	ds_read2_b64 v[9:12], v0 offset0:12 offset1:24
	ds_read2_b64 v[13:16], v0 offset0:36 offset1:48
	s_waitcnt vmcnt(0) lgkmcnt(0)
	s_barrier
	buffer_gl0_inv
	v_mul_f32_e32 v19, v18, v2
	v_mul_f32_e32 v18, v18, v1
	;; [unrolled: 1-line block ×10, first 2 shown]
	v_fma_f32 v1, v17, v1, -v19
	v_fmac_f32_e32 v18, v17, v2
	v_fma_f32 v3, v25, v3, -v31
	v_fmac_f32_e32 v26, v25, v4
	;; [unrolled: 2-line block ×5, first 2 shown]
	v_sub_f32_e32 v1, v33, v1
	v_sub_f32_e32 v2, v34, v18
	;; [unrolled: 1-line block ×10, first 2 shown]
	v_fma_f32 v3, v33, 2.0, -v1
	v_fma_f32 v4, v34, 2.0, -v2
	;; [unrolled: 1-line block ×10, first 2 shown]
	ds_write2_b64 v35, v[3:4], v[1:2] offset1:60
	ds_write2_b32 v0, v17, v18 offset0:144 offset1:145
	ds_write2_b64 v0, v[5:6], v[7:8] offset0:12 offset1:24
	ds_write2_b32 v0, v19, v25 offset0:168 offset1:169
	ds_write2_b32 v0, v26, v27 offset0:192 offset1:193
	ds_write2_b64 v0, v[9:10], v[11:12] offset0:36 offset1:48
	ds_write2_b32 v0, v28, v29 offset0:216 offset1:217
	s_waitcnt lgkmcnt(0)
	s_barrier
	buffer_gl0_inv
	s_and_saveexec_b32 s0, vcc_lo
	s_cbranch_execz .LBB0_22
; %bb.21:
	v_mul_lo_u32 v2, s3, v22
	v_mul_lo_u32 v3, s2, v23
	v_mad_u64_u32 v[0:1], null, s2, v22, 0
	v_lshl_add_u32 v22, v24, 3, v32
	v_mov_b32_e32 v25, 0
	v_lshlrev_b64 v[4:5], 3, v[20:21]
	v_add_nc_u32_e32 v6, 12, v24
	v_add_nc_u32_e32 v8, 24, v24
	;; [unrolled: 1-line block ×3, first 2 shown]
	v_add3_u32 v1, v1, v3, v2
	v_lshlrev_b64 v[13:14], 3, v[24:25]
	v_mov_b32_e32 v7, v25
	v_mov_b32_e32 v9, v25
	v_add_nc_u32_e32 v16, 48, v24
	v_lshlrev_b64 v[11:12], 3, v[0:1]
	ds_read2_b64 v[0:3], v22 offset1:12
	v_mov_b32_e32 v17, v25
	v_add_nc_u32_e32 v18, 60, v24
	v_mov_b32_e32 v19, v25
	v_add_co_u32 v15, vcc_lo, s10, v11
	v_add_co_ci_u32_e32 v12, vcc_lo, s11, v12, vcc_lo
	v_mov_b32_e32 v11, v25
	v_add_co_u32 v20, vcc_lo, v15, v4
	v_add_co_ci_u32_e32 v21, vcc_lo, v12, v5, vcc_lo
	v_lshlrev_b64 v[4:5], 3, v[6:7]
	v_add_co_u32 v6, vcc_lo, v20, v13
	v_add_co_ci_u32_e32 v7, vcc_lo, v21, v14, vcc_lo
	v_lshlrev_b64 v[14:15], 3, v[10:11]
	v_add_co_u32 v12, vcc_lo, v20, v4
	v_add_co_ci_u32_e32 v13, vcc_lo, v21, v5, vcc_lo
	s_waitcnt lgkmcnt(0)
	global_store_dwordx2 v[6:7], v[0:1], off
	ds_read2_b64 v[4:7], v22 offset0:24 offset1:36
	v_lshlrev_b64 v[0:1], 3, v[8:9]
	ds_read2_b64 v[8:11], v22 offset0:48 offset1:60
	v_lshlrev_b64 v[16:17], 3, v[16:17]
	v_add_co_u32 v0, vcc_lo, v20, v0
	v_add_co_ci_u32_e32 v1, vcc_lo, v21, v1, vcc_lo
	v_add_co_u32 v14, vcc_lo, v20, v14
	v_add_co_ci_u32_e32 v15, vcc_lo, v21, v15, vcc_lo
	;; [unrolled: 2-line block ×3, first 2 shown]
	global_store_dwordx2 v[12:13], v[2:3], off
	s_waitcnt lgkmcnt(1)
	global_store_dwordx2 v[0:1], v[4:5], off
	global_store_dwordx2 v[14:15], v[6:7], off
	s_waitcnt lgkmcnt(0)
	global_store_dwordx2 v[16:17], v[8:9], off
	v_lshlrev_b64 v[0:1], 3, v[18:19]
	v_add_nc_u32_e32 v4, 0x48, v24
	v_mov_b32_e32 v5, v25
	v_add_nc_u32_e32 v6, 0x54, v24
	v_mov_b32_e32 v7, v25
	v_add_nc_u32_e32 v16, 0x60, v24
	v_add_co_u32 v8, vcc_lo, v20, v0
	v_add_co_ci_u32_e32 v9, vcc_lo, v21, v1, vcc_lo
	ds_read2_b64 v[0:3], v22 offset0:72 offset1:84
	v_lshlrev_b64 v[12:13], 3, v[4:5]
	v_lshlrev_b64 v[14:15], 3, v[6:7]
	v_mov_b32_e32 v17, v25
	ds_read2_b64 v[4:7], v22 offset0:96 offset1:108
	v_add_nc_u32_e32 v24, 0x6c, v24
	v_add_co_u32 v12, vcc_lo, v20, v12
	v_lshlrev_b64 v[16:17], 3, v[16:17]
	v_add_co_ci_u32_e32 v13, vcc_lo, v21, v13, vcc_lo
	v_add_co_u32 v14, vcc_lo, v20, v14
	v_lshlrev_b64 v[18:19], 3, v[24:25]
	v_add_co_ci_u32_e32 v15, vcc_lo, v21, v15, vcc_lo
	v_add_co_u32 v16, vcc_lo, v20, v16
	v_add_co_ci_u32_e32 v17, vcc_lo, v21, v17, vcc_lo
	v_add_co_u32 v18, vcc_lo, v20, v18
	v_add_co_ci_u32_e32 v19, vcc_lo, v21, v19, vcc_lo
	global_store_dwordx2 v[8:9], v[10:11], off
	s_waitcnt lgkmcnt(1)
	global_store_dwordx2 v[12:13], v[0:1], off
	global_store_dwordx2 v[14:15], v[2:3], off
	s_waitcnt lgkmcnt(0)
	global_store_dwordx2 v[16:17], v[4:5], off
	global_store_dwordx2 v[18:19], v[6:7], off
.LBB0_22:
	s_endpgm
	.section	.rodata,"a",@progbits
	.p2align	6, 0x0
	.amdhsa_kernel fft_rtc_fwd_len120_factors_6_10_2_wgs_60_tpt_12_halfLds_sp_op_CI_CI_unitstride_sbrr_C2R_dirReg
		.amdhsa_group_segment_fixed_size 0
		.amdhsa_private_segment_fixed_size 0
		.amdhsa_kernarg_size 104
		.amdhsa_user_sgpr_count 6
		.amdhsa_user_sgpr_private_segment_buffer 1
		.amdhsa_user_sgpr_dispatch_ptr 0
		.amdhsa_user_sgpr_queue_ptr 0
		.amdhsa_user_sgpr_kernarg_segment_ptr 1
		.amdhsa_user_sgpr_dispatch_id 0
		.amdhsa_user_sgpr_flat_scratch_init 0
		.amdhsa_user_sgpr_private_segment_size 0
		.amdhsa_wavefront_size32 1
		.amdhsa_uses_dynamic_stack 0
		.amdhsa_system_sgpr_private_segment_wavefront_offset 0
		.amdhsa_system_sgpr_workgroup_id_x 1
		.amdhsa_system_sgpr_workgroup_id_y 0
		.amdhsa_system_sgpr_workgroup_id_z 0
		.amdhsa_system_sgpr_workgroup_info 0
		.amdhsa_system_vgpr_workitem_id 0
		.amdhsa_next_free_vgpr 64
		.amdhsa_next_free_sgpr 27
		.amdhsa_reserve_vcc 1
		.amdhsa_reserve_flat_scratch 0
		.amdhsa_float_round_mode_32 0
		.amdhsa_float_round_mode_16_64 0
		.amdhsa_float_denorm_mode_32 3
		.amdhsa_float_denorm_mode_16_64 3
		.amdhsa_dx10_clamp 1
		.amdhsa_ieee_mode 1
		.amdhsa_fp16_overflow 0
		.amdhsa_workgroup_processor_mode 1
		.amdhsa_memory_ordered 1
		.amdhsa_forward_progress 0
		.amdhsa_shared_vgpr_count 0
		.amdhsa_exception_fp_ieee_invalid_op 0
		.amdhsa_exception_fp_denorm_src 0
		.amdhsa_exception_fp_ieee_div_zero 0
		.amdhsa_exception_fp_ieee_overflow 0
		.amdhsa_exception_fp_ieee_underflow 0
		.amdhsa_exception_fp_ieee_inexact 0
		.amdhsa_exception_int_div_zero 0
	.end_amdhsa_kernel
	.text
.Lfunc_end0:
	.size	fft_rtc_fwd_len120_factors_6_10_2_wgs_60_tpt_12_halfLds_sp_op_CI_CI_unitstride_sbrr_C2R_dirReg, .Lfunc_end0-fft_rtc_fwd_len120_factors_6_10_2_wgs_60_tpt_12_halfLds_sp_op_CI_CI_unitstride_sbrr_C2R_dirReg
                                        ; -- End function
	.section	.AMDGPU.csdata,"",@progbits
; Kernel info:
; codeLenInByte = 5380
; NumSgprs: 29
; NumVgprs: 64
; ScratchSize: 0
; MemoryBound: 0
; FloatMode: 240
; IeeeMode: 1
; LDSByteSize: 0 bytes/workgroup (compile time only)
; SGPRBlocks: 3
; VGPRBlocks: 7
; NumSGPRsForWavesPerEU: 29
; NumVGPRsForWavesPerEU: 64
; Occupancy: 16
; WaveLimiterHint : 1
; COMPUTE_PGM_RSRC2:SCRATCH_EN: 0
; COMPUTE_PGM_RSRC2:USER_SGPR: 6
; COMPUTE_PGM_RSRC2:TRAP_HANDLER: 0
; COMPUTE_PGM_RSRC2:TGID_X_EN: 1
; COMPUTE_PGM_RSRC2:TGID_Y_EN: 0
; COMPUTE_PGM_RSRC2:TGID_Z_EN: 0
; COMPUTE_PGM_RSRC2:TIDIG_COMP_CNT: 0
	.text
	.p2alignl 6, 3214868480
	.fill 48, 4, 3214868480
	.type	__hip_cuid_6f5d6fc0af0fdb72,@object ; @__hip_cuid_6f5d6fc0af0fdb72
	.section	.bss,"aw",@nobits
	.globl	__hip_cuid_6f5d6fc0af0fdb72
__hip_cuid_6f5d6fc0af0fdb72:
	.byte	0                               ; 0x0
	.size	__hip_cuid_6f5d6fc0af0fdb72, 1

	.ident	"AMD clang version 19.0.0git (https://github.com/RadeonOpenCompute/llvm-project roc-6.4.0 25133 c7fe45cf4b819c5991fe208aaa96edf142730f1d)"
	.section	".note.GNU-stack","",@progbits
	.addrsig
	.addrsig_sym __hip_cuid_6f5d6fc0af0fdb72
	.amdgpu_metadata
---
amdhsa.kernels:
  - .args:
      - .actual_access:  read_only
        .address_space:  global
        .offset:         0
        .size:           8
        .value_kind:     global_buffer
      - .offset:         8
        .size:           8
        .value_kind:     by_value
      - .actual_access:  read_only
        .address_space:  global
        .offset:         16
        .size:           8
        .value_kind:     global_buffer
      - .actual_access:  read_only
        .address_space:  global
        .offset:         24
        .size:           8
        .value_kind:     global_buffer
      - .actual_access:  read_only
        .address_space:  global
        .offset:         32
        .size:           8
        .value_kind:     global_buffer
      - .offset:         40
        .size:           8
        .value_kind:     by_value
      - .actual_access:  read_only
        .address_space:  global
        .offset:         48
        .size:           8
        .value_kind:     global_buffer
      - .actual_access:  read_only
        .address_space:  global
        .offset:         56
        .size:           8
        .value_kind:     global_buffer
      - .offset:         64
        .size:           4
        .value_kind:     by_value
      - .actual_access:  read_only
        .address_space:  global
        .offset:         72
        .size:           8
        .value_kind:     global_buffer
      - .actual_access:  read_only
        .address_space:  global
        .offset:         80
        .size:           8
        .value_kind:     global_buffer
      - .actual_access:  read_only
        .address_space:  global
        .offset:         88
        .size:           8
        .value_kind:     global_buffer
      - .actual_access:  write_only
        .address_space:  global
        .offset:         96
        .size:           8
        .value_kind:     global_buffer
    .group_segment_fixed_size: 0
    .kernarg_segment_align: 8
    .kernarg_segment_size: 104
    .language:       OpenCL C
    .language_version:
      - 2
      - 0
    .max_flat_workgroup_size: 60
    .name:           fft_rtc_fwd_len120_factors_6_10_2_wgs_60_tpt_12_halfLds_sp_op_CI_CI_unitstride_sbrr_C2R_dirReg
    .private_segment_fixed_size: 0
    .sgpr_count:     29
    .sgpr_spill_count: 0
    .symbol:         fft_rtc_fwd_len120_factors_6_10_2_wgs_60_tpt_12_halfLds_sp_op_CI_CI_unitstride_sbrr_C2R_dirReg.kd
    .uniform_work_group_size: 1
    .uses_dynamic_stack: false
    .vgpr_count:     64
    .vgpr_spill_count: 0
    .wavefront_size: 32
    .workgroup_processor_mode: 1
amdhsa.target:   amdgcn-amd-amdhsa--gfx1030
amdhsa.version:
  - 1
  - 2
...

	.end_amdgpu_metadata
